;; amdgpu-corpus repo=ggml-org/llama.cpp kind=compiled arch=gfx906 opt=O3
	.amdgcn_target "amdgcn-amd-amdhsa--gfx906"
	.amdhsa_code_object_version 6
	.section	.text._ZL12snake_kernelIfEvPKT_PKfS4_PS0_i15HIP_vector_typeIjLj3EE,"axG",@progbits,_ZL12snake_kernelIfEvPKT_PKfS4_PS0_i15HIP_vector_typeIjLj3EE,comdat
	.globl	_ZL12snake_kernelIfEvPKT_PKfS4_PS0_i15HIP_vector_typeIjLj3EE ; -- Begin function _ZL12snake_kernelIfEvPKT_PKfS4_PS0_i15HIP_vector_typeIjLj3EE
	.p2align	8
	.type	_ZL12snake_kernelIfEvPKT_PKfS4_PS0_i15HIP_vector_typeIjLj3EE,@function
_ZL12snake_kernelIfEvPKT_PKfS4_PS0_i15HIP_vector_typeIjLj3EE: ; @_ZL12snake_kernelIfEvPKT_PKfS4_PS0_i15HIP_vector_typeIjLj3EE
; %bb.0:
	s_load_dword s0, s[4:5], 0x3c
	s_load_dword s1, s[4:5], 0x20
	s_waitcnt lgkmcnt(0)
	s_and_b32 s0, s0, 0xffff
	s_mul_i32 s6, s6, s0
	v_add_u32_e32 v2, s6, v0
	v_cmp_gt_i32_e32 vcc, s1, v2
	s_and_saveexec_b64 s[0:1], vcc
	s_cbranch_execz .LBB0_6
; %bb.1:
	s_load_dwordx2 s[0:1], s[4:5], 0x24
	s_load_dwordx8 s[8:15], s[4:5], 0x0
	v_ashrrev_i32_e32 v3, 31, v2
	v_lshlrev_b64 v[0:1], 2, v[2:3]
                                        ; implicit-def: $vgpr8
                                        ; implicit-def: $vgpr7
	s_waitcnt lgkmcnt(0)
	v_mul_hi_u32 v4, s0, v2
	v_mov_b32_e32 v5, s9
	v_add_co_u32_e32 v3, vcc, s8, v0
	v_add_u32_e32 v2, v2, v4
	v_lshrrev_b32_e32 v2, s1, v2
	v_addc_co_u32_e32 v4, vcc, v5, v1, vcc
	global_load_dword v4, v[3:4], off
	v_ashrrev_i32_e32 v3, 31, v2
	v_lshlrev_b64 v[2:3], 2, v[2:3]
	v_mov_b32_e32 v6, s11
	v_add_co_u32_e32 v5, vcc, s10, v2
	v_addc_co_u32_e32 v6, vcc, v6, v3, vcc
	global_load_dword v5, v[5:6], off
	s_brev_b32 s0, 18
	s_waitcnt vmcnt(0)
	v_mul_f32_e32 v5, v4, v5
	v_and_b32_e32 v6, 0x7fffffff, v5
	v_cmp_nlt_f32_e64 s[0:1], |v5|, s0
	s_and_saveexec_b64 s[2:3], s[0:1]
	s_xor_b64 s[6:7], exec, s[2:3]
	s_cbranch_execz .LBB0_3
; %bb.2:
	v_and_b32_e32 v7, 0x7fffff, v6
	v_or_b32_e32 v16, 0x800000, v7
	s_mov_b32 s0, 0xfe5163ab
	v_mad_u64_u32 v[7:8], s[0:1], v16, s0, 0
	v_mov_b32_e32 v9, 0
	s_mov_b32 s0, 0x3c439041
	v_mad_u64_u32 v[10:11], s[0:1], v16, s0, v[8:9]
	s_mov_b32 s0, 0xdb629599
	v_not_b32_e32 v15, 63
	v_mov_b32_e32 v8, v11
	v_mad_u64_u32 v[11:12], s[0:1], v16, s0, v[8:9]
	s_mov_b32 s0, 0xf534ddc0
	v_not_b32_e32 v18, 31
	v_mov_b32_e32 v8, v12
	v_mad_u64_u32 v[12:13], s[0:1], v16, s0, v[8:9]
	v_lshrrev_b32_e32 v8, 23, v6
	v_add_u32_e32 v17, 0xffffff88, v8
	v_mov_b32_e32 v8, v13
	s_mov_b32 s0, 0xfc2757d1
	v_mad_u64_u32 v[13:14], s[0:1], v16, s0, v[8:9]
	v_cmp_lt_u32_e32 vcc, 63, v17
	v_cndmask_b32_e32 v8, 0, v15, vcc
	v_add_u32_e32 v17, v8, v17
	v_mov_b32_e32 v8, v14
	s_mov_b32 s0, 0x4e441529
	v_mad_u64_u32 v[14:15], s[0:1], v16, s0, v[8:9]
	v_cmp_lt_u32_e64 s[0:1], 31, v17
	v_cndmask_b32_e64 v8, 0, v18, s[0:1]
	v_add_u32_e32 v17, v8, v17
	v_mov_b32_e32 v8, v15
	s_mov_b32 s2, 0xa2f9836e
	v_mad_u64_u32 v[8:9], s[2:3], v16, s2, v[8:9]
	v_cmp_lt_u32_e64 s[2:3], 31, v17
	v_cndmask_b32_e64 v15, 0, v18, s[2:3]
	v_cndmask_b32_e32 v16, v14, v12, vcc
	v_cndmask_b32_e32 v8, v8, v13, vcc
	;; [unrolled: 1-line block ×3, first 2 shown]
	v_add_u32_e32 v15, v15, v17
	v_cndmask_b32_e64 v17, v8, v16, s[0:1]
	v_cndmask_b32_e64 v8, v9, v8, s[0:1]
	v_cndmask_b32_e32 v9, v13, v11, vcc
	v_cndmask_b32_e64 v13, v16, v9, s[0:1]
	v_cndmask_b32_e32 v10, v12, v10, vcc
	v_cndmask_b32_e64 v8, v8, v17, s[2:3]
	v_cndmask_b32_e64 v14, v17, v13, s[2:3]
	v_sub_u32_e32 v16, 32, v15
	v_cndmask_b32_e64 v9, v9, v10, s[0:1]
	v_alignbit_b32 v17, v8, v14, v16
	v_cmp_eq_u32_e64 s[4:5], 0, v15
	v_cndmask_b32_e64 v12, v13, v9, s[2:3]
	v_cndmask_b32_e64 v8, v17, v8, s[4:5]
	v_alignbit_b32 v13, v14, v12, v16
	v_cndmask_b32_e32 v7, v11, v7, vcc
	v_cndmask_b32_e64 v13, v13, v14, s[4:5]
	v_bfe_u32 v17, v8, 29, 1
	v_cndmask_b32_e64 v7, v10, v7, s[0:1]
	v_alignbit_b32 v14, v8, v13, 30
	v_sub_u32_e32 v18, 0, v17
	v_cndmask_b32_e64 v7, v9, v7, s[2:3]
	v_xor_b32_e32 v14, v14, v18
	v_alignbit_b32 v9, v12, v7, v16
	v_cndmask_b32_e64 v9, v9, v12, s[4:5]
	v_ffbh_u32_e32 v11, v14
	v_alignbit_b32 v10, v13, v9, 30
	v_min_u32_e32 v11, 32, v11
	v_alignbit_b32 v7, v9, v7, 30
	v_xor_b32_e32 v10, v10, v18
	v_sub_u32_e32 v12, 31, v11
	v_xor_b32_e32 v7, v7, v18
	v_alignbit_b32 v13, v14, v10, v12
	v_alignbit_b32 v7, v10, v7, v12
	;; [unrolled: 1-line block ×3, first 2 shown]
	v_ffbh_u32_e32 v10, v9
	v_min_u32_e32 v10, 32, v10
	v_lshrrev_b32_e32 v15, 29, v8
	v_not_b32_e32 v12, v10
	v_alignbit_b32 v7, v9, v7, v12
	v_lshlrev_b32_e32 v9, 31, v15
	v_or_b32_e32 v12, 0x33000000, v9
	v_add_lshl_u32 v10, v10, v11, 23
	v_lshrrev_b32_e32 v7, 9, v7
	v_sub_u32_e32 v10, v12, v10
	v_or_b32_e32 v9, 0.5, v9
	v_lshlrev_b32_e32 v11, 23, v11
	v_or_b32_e32 v7, v10, v7
	v_lshrrev_b32_e32 v10, 9, v13
	v_sub_u32_e32 v9, v9, v11
	v_or_b32_e32 v9, v10, v9
	s_mov_b32 s0, 0x3fc90fda
	v_mul_f32_e32 v10, 0x3fc90fda, v9
	v_fma_f32 v11, v9, s0, -v10
	v_fmac_f32_e32 v11, 0x33a22168, v9
	v_fmac_f32_e32 v11, 0x3fc90fda, v7
	v_lshrrev_b32_e32 v8, 30, v8
	v_add_f32_e32 v7, v10, v11
	v_add_u32_e32 v8, v17, v8
.LBB0_3:
	s_andn2_saveexec_b64 s[0:1], s[6:7]
	s_cbranch_execz .LBB0_5
; %bb.4:
	s_mov_b32 s2, 0x3f22f983
	v_mul_f32_e64 v7, |v5|, s2
	v_rndne_f32_e32 v9, v7
	s_mov_b32 s2, 0xbfc90fda
	v_cvt_i32_f32_e32 v8, v9
	v_fma_f32 v7, v9, s2, |v5|
	v_fmac_f32_e32 v7, 0xb3a22168, v9
	v_fmac_f32_e32 v7, 0xa7c234c4, v9
.LBB0_5:
	s_or_b64 exec, exec, s[0:1]
	v_mov_b32_e32 v9, s13
	v_add_co_u32_e32 v2, vcc, s12, v2
	v_addc_co_u32_e32 v3, vcc, v9, v3, vcc
	global_load_dword v2, v[2:3], off
	v_mul_f32_e32 v3, v7, v7
	v_mov_b32_e32 v9, 0x3c0881c4
	v_mov_b32_e32 v11, 0xbab64f3b
	;; [unrolled: 1-line block ×4, first 2 shown]
	v_and_b32_e32 v14, 1, v8
	v_lshlrev_b32_e32 v8, 30, v8
	v_fmac_f32_e32 v9, 0xb94c1982, v3
	v_fmac_f32_e32 v11, 0x37d75334, v3
	v_mov_b32_e32 v13, 0xbf000004
	v_xor_b32_e32 v6, v6, v5
	v_and_b32_e32 v8, 0x80000000, v8
	v_fmac_f32_e32 v10, v3, v9
	v_fmac_f32_e32 v12, v3, v11
	v_xor_b32_e32 v6, v6, v8
	v_mul_f32_e32 v8, v3, v10
	v_fmac_f32_e32 v13, v3, v12
	v_fmac_f32_e32 v7, v7, v8
	v_fma_f32 v3, v3, v13, 1.0
	v_cmp_eq_u32_e32 vcc, 0, v14
	s_movk_i32 s0, 0x1f8
	v_cndmask_b32_e32 v3, v3, v7, vcc
	v_mov_b32_e32 v15, 0x7fc00000
	v_xor_b32_e32 v3, v6, v3
	v_cmp_class_f32_e64 vcc, v5, s0
	v_cndmask_b32_e32 v3, v15, v3, vcc
	v_mov_b32_e32 v16, s15
	v_mul_f32_e32 v3, v3, v3
	v_add_co_u32_e32 v0, vcc, s14, v0
	v_addc_co_u32_e32 v1, vcc, v16, v1, vcc
	s_waitcnt vmcnt(0)
	v_fmac_f32_e32 v4, v2, v3
	global_store_dword v[0:1], v4, off
.LBB0_6:
	s_endpgm
	.section	.rodata,"a",@progbits
	.p2align	6, 0x0
	.amdhsa_kernel _ZL12snake_kernelIfEvPKT_PKfS4_PS0_i15HIP_vector_typeIjLj3EE
		.amdhsa_group_segment_fixed_size 0
		.amdhsa_private_segment_fixed_size 0
		.amdhsa_kernarg_size 304
		.amdhsa_user_sgpr_count 6
		.amdhsa_user_sgpr_private_segment_buffer 1
		.amdhsa_user_sgpr_dispatch_ptr 0
		.amdhsa_user_sgpr_queue_ptr 0
		.amdhsa_user_sgpr_kernarg_segment_ptr 1
		.amdhsa_user_sgpr_dispatch_id 0
		.amdhsa_user_sgpr_flat_scratch_init 0
		.amdhsa_user_sgpr_private_segment_size 0
		.amdhsa_uses_dynamic_stack 0
		.amdhsa_system_sgpr_private_segment_wavefront_offset 0
		.amdhsa_system_sgpr_workgroup_id_x 1
		.amdhsa_system_sgpr_workgroup_id_y 0
		.amdhsa_system_sgpr_workgroup_id_z 0
		.amdhsa_system_sgpr_workgroup_info 0
		.amdhsa_system_vgpr_workitem_id 0
		.amdhsa_next_free_vgpr 19
		.amdhsa_next_free_sgpr 16
		.amdhsa_reserve_vcc 1
		.amdhsa_reserve_flat_scratch 0
		.amdhsa_float_round_mode_32 0
		.amdhsa_float_round_mode_16_64 0
		.amdhsa_float_denorm_mode_32 3
		.amdhsa_float_denorm_mode_16_64 3
		.amdhsa_dx10_clamp 1
		.amdhsa_ieee_mode 1
		.amdhsa_fp16_overflow 0
		.amdhsa_exception_fp_ieee_invalid_op 0
		.amdhsa_exception_fp_denorm_src 0
		.amdhsa_exception_fp_ieee_div_zero 0
		.amdhsa_exception_fp_ieee_overflow 0
		.amdhsa_exception_fp_ieee_underflow 0
		.amdhsa_exception_fp_ieee_inexact 0
		.amdhsa_exception_int_div_zero 0
	.end_amdhsa_kernel
	.section	.text._ZL12snake_kernelIfEvPKT_PKfS4_PS0_i15HIP_vector_typeIjLj3EE,"axG",@progbits,_ZL12snake_kernelIfEvPKT_PKfS4_PS0_i15HIP_vector_typeIjLj3EE,comdat
.Lfunc_end0:
	.size	_ZL12snake_kernelIfEvPKT_PKfS4_PS0_i15HIP_vector_typeIjLj3EE, .Lfunc_end0-_ZL12snake_kernelIfEvPKT_PKfS4_PS0_i15HIP_vector_typeIjLj3EE
                                        ; -- End function
	.set _ZL12snake_kernelIfEvPKT_PKfS4_PS0_i15HIP_vector_typeIjLj3EE.num_vgpr, 19
	.set _ZL12snake_kernelIfEvPKT_PKfS4_PS0_i15HIP_vector_typeIjLj3EE.num_agpr, 0
	.set _ZL12snake_kernelIfEvPKT_PKfS4_PS0_i15HIP_vector_typeIjLj3EE.numbered_sgpr, 16
	.set _ZL12snake_kernelIfEvPKT_PKfS4_PS0_i15HIP_vector_typeIjLj3EE.num_named_barrier, 0
	.set _ZL12snake_kernelIfEvPKT_PKfS4_PS0_i15HIP_vector_typeIjLj3EE.private_seg_size, 0
	.set _ZL12snake_kernelIfEvPKT_PKfS4_PS0_i15HIP_vector_typeIjLj3EE.uses_vcc, 1
	.set _ZL12snake_kernelIfEvPKT_PKfS4_PS0_i15HIP_vector_typeIjLj3EE.uses_flat_scratch, 0
	.set _ZL12snake_kernelIfEvPKT_PKfS4_PS0_i15HIP_vector_typeIjLj3EE.has_dyn_sized_stack, 0
	.set _ZL12snake_kernelIfEvPKT_PKfS4_PS0_i15HIP_vector_typeIjLj3EE.has_recursion, 0
	.set _ZL12snake_kernelIfEvPKT_PKfS4_PS0_i15HIP_vector_typeIjLj3EE.has_indirect_call, 0
	.section	.AMDGPU.csdata,"",@progbits
; Kernel info:
; codeLenInByte = 1052
; TotalNumSgprs: 20
; NumVgprs: 19
; ScratchSize: 0
; MemoryBound: 0
; FloatMode: 240
; IeeeMode: 1
; LDSByteSize: 0 bytes/workgroup (compile time only)
; SGPRBlocks: 2
; VGPRBlocks: 4
; NumSGPRsForWavesPerEU: 20
; NumVGPRsForWavesPerEU: 19
; Occupancy: 10
; WaveLimiterHint : 0
; COMPUTE_PGM_RSRC2:SCRATCH_EN: 0
; COMPUTE_PGM_RSRC2:USER_SGPR: 6
; COMPUTE_PGM_RSRC2:TRAP_HANDLER: 0
; COMPUTE_PGM_RSRC2:TGID_X_EN: 1
; COMPUTE_PGM_RSRC2:TGID_Y_EN: 0
; COMPUTE_PGM_RSRC2:TGID_Z_EN: 0
; COMPUTE_PGM_RSRC2:TIDIG_COMP_CNT: 0
	.section	.text._ZL12snake_kernelI6__halfEvPKT_PKfS5_PS1_i15HIP_vector_typeIjLj3EE,"axG",@progbits,_ZL12snake_kernelI6__halfEvPKT_PKfS5_PS1_i15HIP_vector_typeIjLj3EE,comdat
	.globl	_ZL12snake_kernelI6__halfEvPKT_PKfS5_PS1_i15HIP_vector_typeIjLj3EE ; -- Begin function _ZL12snake_kernelI6__halfEvPKT_PKfS5_PS1_i15HIP_vector_typeIjLj3EE
	.p2align	8
	.type	_ZL12snake_kernelI6__halfEvPKT_PKfS5_PS1_i15HIP_vector_typeIjLj3EE,@function
_ZL12snake_kernelI6__halfEvPKT_PKfS5_PS1_i15HIP_vector_typeIjLj3EE: ; @_ZL12snake_kernelI6__halfEvPKT_PKfS5_PS1_i15HIP_vector_typeIjLj3EE
; %bb.0:
	s_load_dword s0, s[4:5], 0x3c
	s_load_dword s1, s[4:5], 0x20
	s_waitcnt lgkmcnt(0)
	s_and_b32 s0, s0, 0xffff
	s_mul_i32 s6, s6, s0
	v_add_u32_e32 v2, s6, v0
	v_cmp_gt_i32_e32 vcc, s1, v2
	s_and_saveexec_b64 s[0:1], vcc
	s_cbranch_execz .LBB1_6
; %bb.1:
	s_load_dwordx2 s[0:1], s[4:5], 0x24
	s_load_dwordx8 s[8:15], s[4:5], 0x0
	v_ashrrev_i32_e32 v3, 31, v2
	v_lshlrev_b64 v[0:1], 1, v[2:3]
                                        ; implicit-def: $vgpr8
                                        ; implicit-def: $vgpr7
	s_waitcnt lgkmcnt(0)
	v_mul_hi_u32 v4, s0, v2
	v_mov_b32_e32 v5, s9
	v_add_co_u32_e32 v3, vcc, s8, v0
	v_add_u32_e32 v2, v2, v4
	v_lshrrev_b32_e32 v2, s1, v2
	v_addc_co_u32_e32 v4, vcc, v5, v1, vcc
	global_load_ushort v6, v[3:4], off
	v_ashrrev_i32_e32 v3, 31, v2
	v_lshlrev_b64 v[2:3], 2, v[2:3]
	v_mov_b32_e32 v5, s11
	v_add_co_u32_e32 v4, vcc, s10, v2
	v_addc_co_u32_e32 v5, vcc, v5, v3, vcc
	global_load_dword v5, v[4:5], off
	s_brev_b32 s0, 18
	s_waitcnt vmcnt(1)
	v_cvt_f32_f16_e32 v4, v6
	s_waitcnt vmcnt(0)
	v_mul_f32_e32 v5, v5, v4
	v_and_b32_e32 v6, 0x7fffffff, v5
	v_cmp_nlt_f32_e64 s[0:1], |v5|, s0
	s_and_saveexec_b64 s[2:3], s[0:1]
	s_xor_b64 s[6:7], exec, s[2:3]
	s_cbranch_execz .LBB1_3
; %bb.2:
	v_and_b32_e32 v7, 0x7fffff, v6
	v_or_b32_e32 v16, 0x800000, v7
	s_mov_b32 s0, 0xfe5163ab
	v_mad_u64_u32 v[7:8], s[0:1], v16, s0, 0
	v_mov_b32_e32 v9, 0
	s_mov_b32 s0, 0x3c439041
	v_mad_u64_u32 v[10:11], s[0:1], v16, s0, v[8:9]
	s_mov_b32 s0, 0xdb629599
	v_not_b32_e32 v15, 63
	v_mov_b32_e32 v8, v11
	v_mad_u64_u32 v[11:12], s[0:1], v16, s0, v[8:9]
	s_mov_b32 s0, 0xf534ddc0
	v_not_b32_e32 v18, 31
	v_mov_b32_e32 v8, v12
	v_mad_u64_u32 v[12:13], s[0:1], v16, s0, v[8:9]
	v_lshrrev_b32_e32 v8, 23, v6
	v_add_u32_e32 v17, 0xffffff88, v8
	v_mov_b32_e32 v8, v13
	s_mov_b32 s0, 0xfc2757d1
	v_mad_u64_u32 v[13:14], s[0:1], v16, s0, v[8:9]
	v_cmp_lt_u32_e32 vcc, 63, v17
	v_cndmask_b32_e32 v8, 0, v15, vcc
	v_add_u32_e32 v17, v8, v17
	v_mov_b32_e32 v8, v14
	s_mov_b32 s0, 0x4e441529
	v_mad_u64_u32 v[14:15], s[0:1], v16, s0, v[8:9]
	v_cmp_lt_u32_e64 s[0:1], 31, v17
	v_cndmask_b32_e64 v8, 0, v18, s[0:1]
	v_add_u32_e32 v17, v8, v17
	v_mov_b32_e32 v8, v15
	s_mov_b32 s2, 0xa2f9836e
	v_mad_u64_u32 v[8:9], s[2:3], v16, s2, v[8:9]
	v_cmp_lt_u32_e64 s[2:3], 31, v17
	v_cndmask_b32_e64 v15, 0, v18, s[2:3]
	v_cndmask_b32_e32 v16, v14, v12, vcc
	v_cndmask_b32_e32 v8, v8, v13, vcc
	v_cndmask_b32_e32 v9, v9, v14, vcc
	v_add_u32_e32 v15, v15, v17
	v_cndmask_b32_e64 v17, v8, v16, s[0:1]
	v_cndmask_b32_e64 v8, v9, v8, s[0:1]
	v_cndmask_b32_e32 v9, v13, v11, vcc
	v_cndmask_b32_e64 v13, v16, v9, s[0:1]
	v_cndmask_b32_e32 v10, v12, v10, vcc
	v_cndmask_b32_e64 v8, v8, v17, s[2:3]
	v_cndmask_b32_e64 v14, v17, v13, s[2:3]
	v_sub_u32_e32 v16, 32, v15
	v_cndmask_b32_e64 v9, v9, v10, s[0:1]
	v_alignbit_b32 v17, v8, v14, v16
	v_cmp_eq_u32_e64 s[4:5], 0, v15
	v_cndmask_b32_e64 v12, v13, v9, s[2:3]
	v_cndmask_b32_e64 v8, v17, v8, s[4:5]
	v_alignbit_b32 v13, v14, v12, v16
	v_cndmask_b32_e32 v7, v11, v7, vcc
	v_cndmask_b32_e64 v13, v13, v14, s[4:5]
	v_bfe_u32 v17, v8, 29, 1
	v_cndmask_b32_e64 v7, v10, v7, s[0:1]
	v_alignbit_b32 v14, v8, v13, 30
	v_sub_u32_e32 v18, 0, v17
	v_cndmask_b32_e64 v7, v9, v7, s[2:3]
	v_xor_b32_e32 v14, v14, v18
	v_alignbit_b32 v9, v12, v7, v16
	v_cndmask_b32_e64 v9, v9, v12, s[4:5]
	v_ffbh_u32_e32 v11, v14
	v_alignbit_b32 v10, v13, v9, 30
	v_min_u32_e32 v11, 32, v11
	v_alignbit_b32 v7, v9, v7, 30
	v_xor_b32_e32 v10, v10, v18
	v_sub_u32_e32 v12, 31, v11
	v_xor_b32_e32 v7, v7, v18
	v_alignbit_b32 v13, v14, v10, v12
	v_alignbit_b32 v7, v10, v7, v12
	;; [unrolled: 1-line block ×3, first 2 shown]
	v_ffbh_u32_e32 v10, v9
	v_min_u32_e32 v10, 32, v10
	v_lshrrev_b32_e32 v15, 29, v8
	v_not_b32_e32 v12, v10
	v_alignbit_b32 v7, v9, v7, v12
	v_lshlrev_b32_e32 v9, 31, v15
	v_or_b32_e32 v12, 0x33000000, v9
	v_add_lshl_u32 v10, v10, v11, 23
	v_lshrrev_b32_e32 v7, 9, v7
	v_sub_u32_e32 v10, v12, v10
	v_or_b32_e32 v9, 0.5, v9
	v_lshlrev_b32_e32 v11, 23, v11
	v_or_b32_e32 v7, v10, v7
	v_lshrrev_b32_e32 v10, 9, v13
	v_sub_u32_e32 v9, v9, v11
	v_or_b32_e32 v9, v10, v9
	s_mov_b32 s0, 0x3fc90fda
	v_mul_f32_e32 v10, 0x3fc90fda, v9
	v_fma_f32 v11, v9, s0, -v10
	v_fmac_f32_e32 v11, 0x33a22168, v9
	v_fmac_f32_e32 v11, 0x3fc90fda, v7
	v_lshrrev_b32_e32 v8, 30, v8
	v_add_f32_e32 v7, v10, v11
	v_add_u32_e32 v8, v17, v8
.LBB1_3:
	s_andn2_saveexec_b64 s[0:1], s[6:7]
	s_cbranch_execz .LBB1_5
; %bb.4:
	s_mov_b32 s2, 0x3f22f983
	v_mul_f32_e64 v7, |v5|, s2
	v_rndne_f32_e32 v9, v7
	s_mov_b32 s2, 0xbfc90fda
	v_cvt_i32_f32_e32 v8, v9
	v_fma_f32 v7, v9, s2, |v5|
	v_fmac_f32_e32 v7, 0xb3a22168, v9
	v_fmac_f32_e32 v7, 0xa7c234c4, v9
.LBB1_5:
	s_or_b64 exec, exec, s[0:1]
	v_mov_b32_e32 v9, s13
	v_add_co_u32_e32 v2, vcc, s12, v2
	v_addc_co_u32_e32 v3, vcc, v9, v3, vcc
	global_load_dword v2, v[2:3], off
	v_mul_f32_e32 v3, v7, v7
	v_mov_b32_e32 v9, 0x3c0881c4
	v_mov_b32_e32 v11, 0xbab64f3b
	;; [unrolled: 1-line block ×4, first 2 shown]
	v_and_b32_e32 v14, 1, v8
	v_lshlrev_b32_e32 v8, 30, v8
	v_fmac_f32_e32 v9, 0xb94c1982, v3
	v_fmac_f32_e32 v11, 0x37d75334, v3
	v_mov_b32_e32 v13, 0xbf000004
	v_xor_b32_e32 v6, v6, v5
	v_and_b32_e32 v8, 0x80000000, v8
	v_fmac_f32_e32 v10, v3, v9
	v_fmac_f32_e32 v12, v3, v11
	v_xor_b32_e32 v6, v6, v8
	v_mul_f32_e32 v8, v3, v10
	v_fmac_f32_e32 v13, v3, v12
	v_fmac_f32_e32 v7, v7, v8
	v_fma_f32 v3, v3, v13, 1.0
	v_cmp_eq_u32_e32 vcc, 0, v14
	s_movk_i32 s0, 0x1f8
	v_cndmask_b32_e32 v3, v3, v7, vcc
	v_mov_b32_e32 v15, 0x7fc00000
	v_xor_b32_e32 v3, v6, v3
	v_cmp_class_f32_e64 vcc, v5, s0
	v_cndmask_b32_e32 v3, v15, v3, vcc
	v_mov_b32_e32 v16, s15
	v_mul_f32_e32 v3, v3, v3
	v_add_co_u32_e32 v0, vcc, s14, v0
	v_addc_co_u32_e32 v1, vcc, v16, v1, vcc
	s_waitcnt vmcnt(0)
	v_fma_mixlo_f16 v2, v2, v3, v4
	global_store_short v[0:1], v2, off
.LBB1_6:
	s_endpgm
	.section	.rodata,"a",@progbits
	.p2align	6, 0x0
	.amdhsa_kernel _ZL12snake_kernelI6__halfEvPKT_PKfS5_PS1_i15HIP_vector_typeIjLj3EE
		.amdhsa_group_segment_fixed_size 0
		.amdhsa_private_segment_fixed_size 0
		.amdhsa_kernarg_size 304
		.amdhsa_user_sgpr_count 6
		.amdhsa_user_sgpr_private_segment_buffer 1
		.amdhsa_user_sgpr_dispatch_ptr 0
		.amdhsa_user_sgpr_queue_ptr 0
		.amdhsa_user_sgpr_kernarg_segment_ptr 1
		.amdhsa_user_sgpr_dispatch_id 0
		.amdhsa_user_sgpr_flat_scratch_init 0
		.amdhsa_user_sgpr_private_segment_size 0
		.amdhsa_uses_dynamic_stack 0
		.amdhsa_system_sgpr_private_segment_wavefront_offset 0
		.amdhsa_system_sgpr_workgroup_id_x 1
		.amdhsa_system_sgpr_workgroup_id_y 0
		.amdhsa_system_sgpr_workgroup_id_z 0
		.amdhsa_system_sgpr_workgroup_info 0
		.amdhsa_system_vgpr_workitem_id 0
		.amdhsa_next_free_vgpr 19
		.amdhsa_next_free_sgpr 16
		.amdhsa_reserve_vcc 1
		.amdhsa_reserve_flat_scratch 0
		.amdhsa_float_round_mode_32 0
		.amdhsa_float_round_mode_16_64 0
		.amdhsa_float_denorm_mode_32 3
		.amdhsa_float_denorm_mode_16_64 3
		.amdhsa_dx10_clamp 1
		.amdhsa_ieee_mode 1
		.amdhsa_fp16_overflow 0
		.amdhsa_exception_fp_ieee_invalid_op 0
		.amdhsa_exception_fp_denorm_src 0
		.amdhsa_exception_fp_ieee_div_zero 0
		.amdhsa_exception_fp_ieee_overflow 0
		.amdhsa_exception_fp_ieee_underflow 0
		.amdhsa_exception_fp_ieee_inexact 0
		.amdhsa_exception_int_div_zero 0
	.end_amdhsa_kernel
	.section	.text._ZL12snake_kernelI6__halfEvPKT_PKfS5_PS1_i15HIP_vector_typeIjLj3EE,"axG",@progbits,_ZL12snake_kernelI6__halfEvPKT_PKfS5_PS1_i15HIP_vector_typeIjLj3EE,comdat
.Lfunc_end1:
	.size	_ZL12snake_kernelI6__halfEvPKT_PKfS5_PS1_i15HIP_vector_typeIjLj3EE, .Lfunc_end1-_ZL12snake_kernelI6__halfEvPKT_PKfS5_PS1_i15HIP_vector_typeIjLj3EE
                                        ; -- End function
	.set _ZL12snake_kernelI6__halfEvPKT_PKfS5_PS1_i15HIP_vector_typeIjLj3EE.num_vgpr, 19
	.set _ZL12snake_kernelI6__halfEvPKT_PKfS5_PS1_i15HIP_vector_typeIjLj3EE.num_agpr, 0
	.set _ZL12snake_kernelI6__halfEvPKT_PKfS5_PS1_i15HIP_vector_typeIjLj3EE.numbered_sgpr, 16
	.set _ZL12snake_kernelI6__halfEvPKT_PKfS5_PS1_i15HIP_vector_typeIjLj3EE.num_named_barrier, 0
	.set _ZL12snake_kernelI6__halfEvPKT_PKfS5_PS1_i15HIP_vector_typeIjLj3EE.private_seg_size, 0
	.set _ZL12snake_kernelI6__halfEvPKT_PKfS5_PS1_i15HIP_vector_typeIjLj3EE.uses_vcc, 1
	.set _ZL12snake_kernelI6__halfEvPKT_PKfS5_PS1_i15HIP_vector_typeIjLj3EE.uses_flat_scratch, 0
	.set _ZL12snake_kernelI6__halfEvPKT_PKfS5_PS1_i15HIP_vector_typeIjLj3EE.has_dyn_sized_stack, 0
	.set _ZL12snake_kernelI6__halfEvPKT_PKfS5_PS1_i15HIP_vector_typeIjLj3EE.has_recursion, 0
	.set _ZL12snake_kernelI6__halfEvPKT_PKfS5_PS1_i15HIP_vector_typeIjLj3EE.has_indirect_call, 0
	.section	.AMDGPU.csdata,"",@progbits
; Kernel info:
; codeLenInByte = 1064
; TotalNumSgprs: 20
; NumVgprs: 19
; ScratchSize: 0
; MemoryBound: 0
; FloatMode: 240
; IeeeMode: 1
; LDSByteSize: 0 bytes/workgroup (compile time only)
; SGPRBlocks: 2
; VGPRBlocks: 4
; NumSGPRsForWavesPerEU: 20
; NumVGPRsForWavesPerEU: 19
; Occupancy: 10
; WaveLimiterHint : 0
; COMPUTE_PGM_RSRC2:SCRATCH_EN: 0
; COMPUTE_PGM_RSRC2:USER_SGPR: 6
; COMPUTE_PGM_RSRC2:TRAP_HANDLER: 0
; COMPUTE_PGM_RSRC2:TGID_X_EN: 1
; COMPUTE_PGM_RSRC2:TGID_Y_EN: 0
; COMPUTE_PGM_RSRC2:TGID_Z_EN: 0
; COMPUTE_PGM_RSRC2:TIDIG_COMP_CNT: 0
	.section	.text._ZL12snake_kernelI14__hip_bfloat16EvPKT_PKfS5_PS1_i15HIP_vector_typeIjLj3EE,"axG",@progbits,_ZL12snake_kernelI14__hip_bfloat16EvPKT_PKfS5_PS1_i15HIP_vector_typeIjLj3EE,comdat
	.globl	_ZL12snake_kernelI14__hip_bfloat16EvPKT_PKfS5_PS1_i15HIP_vector_typeIjLj3EE ; -- Begin function _ZL12snake_kernelI14__hip_bfloat16EvPKT_PKfS5_PS1_i15HIP_vector_typeIjLj3EE
	.p2align	8
	.type	_ZL12snake_kernelI14__hip_bfloat16EvPKT_PKfS5_PS1_i15HIP_vector_typeIjLj3EE,@function
_ZL12snake_kernelI14__hip_bfloat16EvPKT_PKfS5_PS1_i15HIP_vector_typeIjLj3EE: ; @_ZL12snake_kernelI14__hip_bfloat16EvPKT_PKfS5_PS1_i15HIP_vector_typeIjLj3EE
; %bb.0:
	s_load_dword s0, s[4:5], 0x3c
	s_load_dword s1, s[4:5], 0x20
	s_waitcnt lgkmcnt(0)
	s_and_b32 s0, s0, 0xffff
	s_mul_i32 s6, s6, s0
	v_add_u32_e32 v2, s6, v0
	v_cmp_gt_i32_e32 vcc, s1, v2
	s_and_saveexec_b64 s[0:1], vcc
	s_cbranch_execz .LBB2_6
; %bb.1:
	s_load_dwordx2 s[0:1], s[4:5], 0x24
	s_load_dwordx8 s[8:15], s[4:5], 0x0
	v_ashrrev_i32_e32 v3, 31, v2
	v_lshlrev_b64 v[0:1], 1, v[2:3]
                                        ; implicit-def: $vgpr8
                                        ; implicit-def: $vgpr7
	s_waitcnt lgkmcnt(0)
	v_mul_hi_u32 v4, s0, v2
	v_mov_b32_e32 v5, s9
	v_add_co_u32_e32 v3, vcc, s8, v0
	v_add_u32_e32 v2, v2, v4
	v_lshrrev_b32_e32 v2, s1, v2
	v_addc_co_u32_e32 v4, vcc, v5, v1, vcc
	global_load_ushort v6, v[3:4], off
	v_ashrrev_i32_e32 v3, 31, v2
	v_lshlrev_b64 v[2:3], 2, v[2:3]
	v_mov_b32_e32 v5, s11
	v_add_co_u32_e32 v4, vcc, s10, v2
	v_addc_co_u32_e32 v5, vcc, v5, v3, vcc
	global_load_dword v5, v[4:5], off
	s_brev_b32 s0, 18
	s_waitcnt vmcnt(1)
	v_lshlrev_b32_e32 v4, 16, v6
	s_waitcnt vmcnt(0)
	v_mul_f32_e32 v5, v5, v4
	v_and_b32_e32 v6, 0x7fffffff, v5
	v_cmp_nlt_f32_e64 s[0:1], |v5|, s0
	s_and_saveexec_b64 s[2:3], s[0:1]
	s_xor_b64 s[6:7], exec, s[2:3]
	s_cbranch_execz .LBB2_3
; %bb.2:
	v_and_b32_e32 v7, 0x7fffff, v6
	v_or_b32_e32 v16, 0x800000, v7
	s_mov_b32 s0, 0xfe5163ab
	v_mad_u64_u32 v[7:8], s[0:1], v16, s0, 0
	v_mov_b32_e32 v9, 0
	s_mov_b32 s0, 0x3c439041
	v_mad_u64_u32 v[10:11], s[0:1], v16, s0, v[8:9]
	s_mov_b32 s0, 0xdb629599
	v_not_b32_e32 v15, 63
	v_mov_b32_e32 v8, v11
	v_mad_u64_u32 v[11:12], s[0:1], v16, s0, v[8:9]
	s_mov_b32 s0, 0xf534ddc0
	v_not_b32_e32 v18, 31
	v_mov_b32_e32 v8, v12
	v_mad_u64_u32 v[12:13], s[0:1], v16, s0, v[8:9]
	v_lshrrev_b32_e32 v8, 23, v6
	v_add_u32_e32 v17, 0xffffff88, v8
	v_mov_b32_e32 v8, v13
	s_mov_b32 s0, 0xfc2757d1
	v_mad_u64_u32 v[13:14], s[0:1], v16, s0, v[8:9]
	v_cmp_lt_u32_e32 vcc, 63, v17
	v_cndmask_b32_e32 v8, 0, v15, vcc
	v_add_u32_e32 v17, v8, v17
	v_mov_b32_e32 v8, v14
	s_mov_b32 s0, 0x4e441529
	v_mad_u64_u32 v[14:15], s[0:1], v16, s0, v[8:9]
	v_cmp_lt_u32_e64 s[0:1], 31, v17
	v_cndmask_b32_e64 v8, 0, v18, s[0:1]
	v_add_u32_e32 v17, v8, v17
	v_mov_b32_e32 v8, v15
	s_mov_b32 s2, 0xa2f9836e
	v_mad_u64_u32 v[8:9], s[2:3], v16, s2, v[8:9]
	v_cmp_lt_u32_e64 s[2:3], 31, v17
	v_cndmask_b32_e64 v15, 0, v18, s[2:3]
	v_cndmask_b32_e32 v16, v14, v12, vcc
	v_cndmask_b32_e32 v8, v8, v13, vcc
	;; [unrolled: 1-line block ×3, first 2 shown]
	v_add_u32_e32 v15, v15, v17
	v_cndmask_b32_e64 v17, v8, v16, s[0:1]
	v_cndmask_b32_e64 v8, v9, v8, s[0:1]
	v_cndmask_b32_e32 v9, v13, v11, vcc
	v_cndmask_b32_e64 v13, v16, v9, s[0:1]
	v_cndmask_b32_e32 v10, v12, v10, vcc
	v_cndmask_b32_e64 v8, v8, v17, s[2:3]
	v_cndmask_b32_e64 v14, v17, v13, s[2:3]
	v_sub_u32_e32 v16, 32, v15
	v_cndmask_b32_e64 v9, v9, v10, s[0:1]
	v_alignbit_b32 v17, v8, v14, v16
	v_cmp_eq_u32_e64 s[4:5], 0, v15
	v_cndmask_b32_e64 v12, v13, v9, s[2:3]
	v_cndmask_b32_e64 v8, v17, v8, s[4:5]
	v_alignbit_b32 v13, v14, v12, v16
	v_cndmask_b32_e32 v7, v11, v7, vcc
	v_cndmask_b32_e64 v13, v13, v14, s[4:5]
	v_bfe_u32 v17, v8, 29, 1
	v_cndmask_b32_e64 v7, v10, v7, s[0:1]
	v_alignbit_b32 v14, v8, v13, 30
	v_sub_u32_e32 v18, 0, v17
	v_cndmask_b32_e64 v7, v9, v7, s[2:3]
	v_xor_b32_e32 v14, v14, v18
	v_alignbit_b32 v9, v12, v7, v16
	v_cndmask_b32_e64 v9, v9, v12, s[4:5]
	v_ffbh_u32_e32 v11, v14
	v_alignbit_b32 v10, v13, v9, 30
	v_min_u32_e32 v11, 32, v11
	v_alignbit_b32 v7, v9, v7, 30
	v_xor_b32_e32 v10, v10, v18
	v_sub_u32_e32 v12, 31, v11
	v_xor_b32_e32 v7, v7, v18
	v_alignbit_b32 v13, v14, v10, v12
	v_alignbit_b32 v7, v10, v7, v12
	;; [unrolled: 1-line block ×3, first 2 shown]
	v_ffbh_u32_e32 v10, v9
	v_min_u32_e32 v10, 32, v10
	v_lshrrev_b32_e32 v15, 29, v8
	v_not_b32_e32 v12, v10
	v_alignbit_b32 v7, v9, v7, v12
	v_lshlrev_b32_e32 v9, 31, v15
	v_or_b32_e32 v12, 0x33000000, v9
	v_add_lshl_u32 v10, v10, v11, 23
	v_lshrrev_b32_e32 v7, 9, v7
	v_sub_u32_e32 v10, v12, v10
	v_or_b32_e32 v9, 0.5, v9
	v_lshlrev_b32_e32 v11, 23, v11
	v_or_b32_e32 v7, v10, v7
	v_lshrrev_b32_e32 v10, 9, v13
	v_sub_u32_e32 v9, v9, v11
	v_or_b32_e32 v9, v10, v9
	s_mov_b32 s0, 0x3fc90fda
	v_mul_f32_e32 v10, 0x3fc90fda, v9
	v_fma_f32 v11, v9, s0, -v10
	v_fmac_f32_e32 v11, 0x33a22168, v9
	v_fmac_f32_e32 v11, 0x3fc90fda, v7
	v_lshrrev_b32_e32 v8, 30, v8
	v_add_f32_e32 v7, v10, v11
	v_add_u32_e32 v8, v17, v8
.LBB2_3:
	s_andn2_saveexec_b64 s[0:1], s[6:7]
	s_cbranch_execz .LBB2_5
; %bb.4:
	s_mov_b32 s2, 0x3f22f983
	v_mul_f32_e64 v7, |v5|, s2
	v_rndne_f32_e32 v9, v7
	s_mov_b32 s2, 0xbfc90fda
	v_cvt_i32_f32_e32 v8, v9
	v_fma_f32 v7, v9, s2, |v5|
	v_fmac_f32_e32 v7, 0xb3a22168, v9
	v_fmac_f32_e32 v7, 0xa7c234c4, v9
.LBB2_5:
	s_or_b64 exec, exec, s[0:1]
	v_mov_b32_e32 v9, s13
	v_add_co_u32_e32 v2, vcc, s12, v2
	v_addc_co_u32_e32 v3, vcc, v9, v3, vcc
	global_load_dword v2, v[2:3], off
	v_mul_f32_e32 v3, v7, v7
	v_mov_b32_e32 v9, 0x3c0881c4
	v_mov_b32_e32 v11, 0xbab64f3b
	v_mov_b32_e32 v10, 0xbe2aaa9d
	v_mov_b32_e32 v12, 0x3d2aabf7
	v_and_b32_e32 v14, 1, v8
	v_lshlrev_b32_e32 v8, 30, v8
	v_fmac_f32_e32 v9, 0xb94c1982, v3
	v_fmac_f32_e32 v11, 0x37d75334, v3
	v_mov_b32_e32 v13, 0xbf000004
	v_xor_b32_e32 v6, v6, v5
	v_and_b32_e32 v8, 0x80000000, v8
	v_fmac_f32_e32 v10, v3, v9
	v_fmac_f32_e32 v12, v3, v11
	v_xor_b32_e32 v6, v6, v8
	v_mul_f32_e32 v8, v3, v10
	v_fmac_f32_e32 v13, v3, v12
	v_fmac_f32_e32 v7, v7, v8
	v_fma_f32 v3, v3, v13, 1.0
	v_cmp_eq_u32_e32 vcc, 0, v14
	s_movk_i32 s0, 0x1f8
	v_cndmask_b32_e32 v3, v3, v7, vcc
	v_mov_b32_e32 v15, 0x7fc00000
	v_xor_b32_e32 v3, v6, v3
	v_cmp_class_f32_e64 vcc, v5, s0
	v_cndmask_b32_e32 v3, v15, v3, vcc
	v_mul_f32_e32 v3, v3, v3
	s_movk_i32 s1, 0x7fff
	v_mov_b32_e32 v16, s15
	s_waitcnt vmcnt(0)
	v_fmac_f32_e32 v4, v2, v3
	v_bfe_u32 v2, v4, 16, 1
	v_or_b32_e32 v3, 0x400000, v4
	v_add3_u32 v2, v2, v4, s1
	v_cmp_u_f32_e32 vcc, v4, v4
	v_cndmask_b32_e32 v2, v2, v3, vcc
	v_add_co_u32_e32 v0, vcc, s14, v0
	v_addc_co_u32_e32 v1, vcc, v16, v1, vcc
	global_store_short_d16_hi v[0:1], v2, off
.LBB2_6:
	s_endpgm
	.section	.rodata,"a",@progbits
	.p2align	6, 0x0
	.amdhsa_kernel _ZL12snake_kernelI14__hip_bfloat16EvPKT_PKfS5_PS1_i15HIP_vector_typeIjLj3EE
		.amdhsa_group_segment_fixed_size 0
		.amdhsa_private_segment_fixed_size 0
		.amdhsa_kernarg_size 304
		.amdhsa_user_sgpr_count 6
		.amdhsa_user_sgpr_private_segment_buffer 1
		.amdhsa_user_sgpr_dispatch_ptr 0
		.amdhsa_user_sgpr_queue_ptr 0
		.amdhsa_user_sgpr_kernarg_segment_ptr 1
		.amdhsa_user_sgpr_dispatch_id 0
		.amdhsa_user_sgpr_flat_scratch_init 0
		.amdhsa_user_sgpr_private_segment_size 0
		.amdhsa_uses_dynamic_stack 0
		.amdhsa_system_sgpr_private_segment_wavefront_offset 0
		.amdhsa_system_sgpr_workgroup_id_x 1
		.amdhsa_system_sgpr_workgroup_id_y 0
		.amdhsa_system_sgpr_workgroup_id_z 0
		.amdhsa_system_sgpr_workgroup_info 0
		.amdhsa_system_vgpr_workitem_id 0
		.amdhsa_next_free_vgpr 19
		.amdhsa_next_free_sgpr 16
		.amdhsa_reserve_vcc 1
		.amdhsa_reserve_flat_scratch 0
		.amdhsa_float_round_mode_32 0
		.amdhsa_float_round_mode_16_64 0
		.amdhsa_float_denorm_mode_32 3
		.amdhsa_float_denorm_mode_16_64 3
		.amdhsa_dx10_clamp 1
		.amdhsa_ieee_mode 1
		.amdhsa_fp16_overflow 0
		.amdhsa_exception_fp_ieee_invalid_op 0
		.amdhsa_exception_fp_denorm_src 0
		.amdhsa_exception_fp_ieee_div_zero 0
		.amdhsa_exception_fp_ieee_overflow 0
		.amdhsa_exception_fp_ieee_underflow 0
		.amdhsa_exception_fp_ieee_inexact 0
		.amdhsa_exception_int_div_zero 0
	.end_amdhsa_kernel
	.section	.text._ZL12snake_kernelI14__hip_bfloat16EvPKT_PKfS5_PS1_i15HIP_vector_typeIjLj3EE,"axG",@progbits,_ZL12snake_kernelI14__hip_bfloat16EvPKT_PKfS5_PS1_i15HIP_vector_typeIjLj3EE,comdat
.Lfunc_end2:
	.size	_ZL12snake_kernelI14__hip_bfloat16EvPKT_PKfS5_PS1_i15HIP_vector_typeIjLj3EE, .Lfunc_end2-_ZL12snake_kernelI14__hip_bfloat16EvPKT_PKfS5_PS1_i15HIP_vector_typeIjLj3EE
                                        ; -- End function
	.set _ZL12snake_kernelI14__hip_bfloat16EvPKT_PKfS5_PS1_i15HIP_vector_typeIjLj3EE.num_vgpr, 19
	.set _ZL12snake_kernelI14__hip_bfloat16EvPKT_PKfS5_PS1_i15HIP_vector_typeIjLj3EE.num_agpr, 0
	.set _ZL12snake_kernelI14__hip_bfloat16EvPKT_PKfS5_PS1_i15HIP_vector_typeIjLj3EE.numbered_sgpr, 16
	.set _ZL12snake_kernelI14__hip_bfloat16EvPKT_PKfS5_PS1_i15HIP_vector_typeIjLj3EE.num_named_barrier, 0
	.set _ZL12snake_kernelI14__hip_bfloat16EvPKT_PKfS5_PS1_i15HIP_vector_typeIjLj3EE.private_seg_size, 0
	.set _ZL12snake_kernelI14__hip_bfloat16EvPKT_PKfS5_PS1_i15HIP_vector_typeIjLj3EE.uses_vcc, 1
	.set _ZL12snake_kernelI14__hip_bfloat16EvPKT_PKfS5_PS1_i15HIP_vector_typeIjLj3EE.uses_flat_scratch, 0
	.set _ZL12snake_kernelI14__hip_bfloat16EvPKT_PKfS5_PS1_i15HIP_vector_typeIjLj3EE.has_dyn_sized_stack, 0
	.set _ZL12snake_kernelI14__hip_bfloat16EvPKT_PKfS5_PS1_i15HIP_vector_typeIjLj3EE.has_recursion, 0
	.set _ZL12snake_kernelI14__hip_bfloat16EvPKT_PKfS5_PS1_i15HIP_vector_typeIjLj3EE.has_indirect_call, 0
	.section	.AMDGPU.csdata,"",@progbits
; Kernel info:
; codeLenInByte = 1096
; TotalNumSgprs: 20
; NumVgprs: 19
; ScratchSize: 0
; MemoryBound: 0
; FloatMode: 240
; IeeeMode: 1
; LDSByteSize: 0 bytes/workgroup (compile time only)
; SGPRBlocks: 2
; VGPRBlocks: 4
; NumSGPRsForWavesPerEU: 20
; NumVGPRsForWavesPerEU: 19
; Occupancy: 10
; WaveLimiterHint : 0
; COMPUTE_PGM_RSRC2:SCRATCH_EN: 0
; COMPUTE_PGM_RSRC2:USER_SGPR: 6
; COMPUTE_PGM_RSRC2:TRAP_HANDLER: 0
; COMPUTE_PGM_RSRC2:TGID_X_EN: 1
; COMPUTE_PGM_RSRC2:TGID_Y_EN: 0
; COMPUTE_PGM_RSRC2:TGID_Z_EN: 0
; COMPUTE_PGM_RSRC2:TIDIG_COMP_CNT: 0
	.section	.AMDGPU.gpr_maximums,"",@progbits
	.set amdgpu.max_num_vgpr, 0
	.set amdgpu.max_num_agpr, 0
	.set amdgpu.max_num_sgpr, 0
	.section	.AMDGPU.csdata,"",@progbits
	.type	__hip_cuid_3d752f7aa802ae4c,@object ; @__hip_cuid_3d752f7aa802ae4c
	.section	.bss,"aw",@nobits
	.globl	__hip_cuid_3d752f7aa802ae4c
__hip_cuid_3d752f7aa802ae4c:
	.byte	0                               ; 0x0
	.size	__hip_cuid_3d752f7aa802ae4c, 1

	.ident	"AMD clang version 22.0.0git (https://github.com/RadeonOpenCompute/llvm-project roc-7.2.4 26084 f58b06dce1f9c15707c5f808fd002e18c2accf7e)"
	.section	".note.GNU-stack","",@progbits
	.addrsig
	.addrsig_sym __hip_cuid_3d752f7aa802ae4c
	.amdgpu_metadata
---
amdhsa.kernels:
  - .args:
      - .actual_access:  read_only
        .address_space:  global
        .offset:         0
        .size:           8
        .value_kind:     global_buffer
      - .actual_access:  read_only
        .address_space:  global
        .offset:         8
        .size:           8
        .value_kind:     global_buffer
      - .actual_access:  read_only
        .address_space:  global
        .offset:         16
        .size:           8
        .value_kind:     global_buffer
      - .actual_access:  write_only
        .address_space:  global
        .offset:         24
        .size:           8
        .value_kind:     global_buffer
      - .offset:         32
        .size:           4
        .value_kind:     by_value
      - .offset:         36
        .size:           12
        .value_kind:     by_value
      - .offset:         48
        .size:           4
        .value_kind:     hidden_block_count_x
      - .offset:         52
        .size:           4
        .value_kind:     hidden_block_count_y
      - .offset:         56
        .size:           4
        .value_kind:     hidden_block_count_z
      - .offset:         60
        .size:           2
        .value_kind:     hidden_group_size_x
      - .offset:         62
        .size:           2
        .value_kind:     hidden_group_size_y
      - .offset:         64
        .size:           2
        .value_kind:     hidden_group_size_z
      - .offset:         66
        .size:           2
        .value_kind:     hidden_remainder_x
      - .offset:         68
        .size:           2
        .value_kind:     hidden_remainder_y
      - .offset:         70
        .size:           2
        .value_kind:     hidden_remainder_z
      - .offset:         88
        .size:           8
        .value_kind:     hidden_global_offset_x
      - .offset:         96
        .size:           8
        .value_kind:     hidden_global_offset_y
      - .offset:         104
        .size:           8
        .value_kind:     hidden_global_offset_z
      - .offset:         112
        .size:           2
        .value_kind:     hidden_grid_dims
    .group_segment_fixed_size: 0
    .kernarg_segment_align: 8
    .kernarg_segment_size: 304
    .language:       OpenCL C
    .language_version:
      - 2
      - 0
    .max_flat_workgroup_size: 1024
    .name:           _ZL12snake_kernelIfEvPKT_PKfS4_PS0_i15HIP_vector_typeIjLj3EE
    .private_segment_fixed_size: 0
    .sgpr_count:     20
    .sgpr_spill_count: 0
    .symbol:         _ZL12snake_kernelIfEvPKT_PKfS4_PS0_i15HIP_vector_typeIjLj3EE.kd
    .uniform_work_group_size: 1
    .uses_dynamic_stack: false
    .vgpr_count:     19
    .vgpr_spill_count: 0
    .wavefront_size: 64
  - .args:
      - .actual_access:  read_only
        .address_space:  global
        .offset:         0
        .size:           8
        .value_kind:     global_buffer
      - .actual_access:  read_only
        .address_space:  global
        .offset:         8
        .size:           8
        .value_kind:     global_buffer
      - .actual_access:  read_only
        .address_space:  global
        .offset:         16
        .size:           8
        .value_kind:     global_buffer
      - .actual_access:  write_only
        .address_space:  global
        .offset:         24
        .size:           8
        .value_kind:     global_buffer
      - .offset:         32
        .size:           4
        .value_kind:     by_value
      - .offset:         36
        .size:           12
        .value_kind:     by_value
      - .offset:         48
        .size:           4
        .value_kind:     hidden_block_count_x
      - .offset:         52
        .size:           4
        .value_kind:     hidden_block_count_y
      - .offset:         56
        .size:           4
        .value_kind:     hidden_block_count_z
      - .offset:         60
        .size:           2
        .value_kind:     hidden_group_size_x
      - .offset:         62
        .size:           2
        .value_kind:     hidden_group_size_y
      - .offset:         64
        .size:           2
        .value_kind:     hidden_group_size_z
      - .offset:         66
        .size:           2
        .value_kind:     hidden_remainder_x
      - .offset:         68
        .size:           2
        .value_kind:     hidden_remainder_y
      - .offset:         70
        .size:           2
        .value_kind:     hidden_remainder_z
      - .offset:         88
        .size:           8
        .value_kind:     hidden_global_offset_x
      - .offset:         96
        .size:           8
        .value_kind:     hidden_global_offset_y
      - .offset:         104
        .size:           8
        .value_kind:     hidden_global_offset_z
      - .offset:         112
        .size:           2
        .value_kind:     hidden_grid_dims
    .group_segment_fixed_size: 0
    .kernarg_segment_align: 8
    .kernarg_segment_size: 304
    .language:       OpenCL C
    .language_version:
      - 2
      - 0
    .max_flat_workgroup_size: 1024
    .name:           _ZL12snake_kernelI6__halfEvPKT_PKfS5_PS1_i15HIP_vector_typeIjLj3EE
    .private_segment_fixed_size: 0
    .sgpr_count:     20
    .sgpr_spill_count: 0
    .symbol:         _ZL12snake_kernelI6__halfEvPKT_PKfS5_PS1_i15HIP_vector_typeIjLj3EE.kd
    .uniform_work_group_size: 1
    .uses_dynamic_stack: false
    .vgpr_count:     19
    .vgpr_spill_count: 0
    .wavefront_size: 64
  - .args:
      - .actual_access:  read_only
        .address_space:  global
        .offset:         0
        .size:           8
        .value_kind:     global_buffer
      - .actual_access:  read_only
        .address_space:  global
        .offset:         8
        .size:           8
        .value_kind:     global_buffer
      - .actual_access:  read_only
        .address_space:  global
        .offset:         16
        .size:           8
        .value_kind:     global_buffer
      - .actual_access:  write_only
        .address_space:  global
        .offset:         24
        .size:           8
        .value_kind:     global_buffer
      - .offset:         32
        .size:           4
        .value_kind:     by_value
      - .offset:         36
        .size:           12
        .value_kind:     by_value
      - .offset:         48
        .size:           4
        .value_kind:     hidden_block_count_x
      - .offset:         52
        .size:           4
        .value_kind:     hidden_block_count_y
      - .offset:         56
        .size:           4
        .value_kind:     hidden_block_count_z
      - .offset:         60
        .size:           2
        .value_kind:     hidden_group_size_x
      - .offset:         62
        .size:           2
        .value_kind:     hidden_group_size_y
      - .offset:         64
        .size:           2
        .value_kind:     hidden_group_size_z
      - .offset:         66
        .size:           2
        .value_kind:     hidden_remainder_x
      - .offset:         68
        .size:           2
        .value_kind:     hidden_remainder_y
      - .offset:         70
        .size:           2
        .value_kind:     hidden_remainder_z
      - .offset:         88
        .size:           8
        .value_kind:     hidden_global_offset_x
      - .offset:         96
        .size:           8
        .value_kind:     hidden_global_offset_y
      - .offset:         104
        .size:           8
        .value_kind:     hidden_global_offset_z
      - .offset:         112
        .size:           2
        .value_kind:     hidden_grid_dims
    .group_segment_fixed_size: 0
    .kernarg_segment_align: 8
    .kernarg_segment_size: 304
    .language:       OpenCL C
    .language_version:
      - 2
      - 0
    .max_flat_workgroup_size: 1024
    .name:           _ZL12snake_kernelI14__hip_bfloat16EvPKT_PKfS5_PS1_i15HIP_vector_typeIjLj3EE
    .private_segment_fixed_size: 0
    .sgpr_count:     20
    .sgpr_spill_count: 0
    .symbol:         _ZL12snake_kernelI14__hip_bfloat16EvPKT_PKfS5_PS1_i15HIP_vector_typeIjLj3EE.kd
    .uniform_work_group_size: 1
    .uses_dynamic_stack: false
    .vgpr_count:     19
    .vgpr_spill_count: 0
    .wavefront_size: 64
amdhsa.target:   amdgcn-amd-amdhsa--gfx906
amdhsa.version:
  - 1
  - 2
...

	.end_amdgpu_metadata
